;; amdgpu-corpus repo=ROCm/rocFFT kind=compiled arch=gfx1030 opt=O3
	.text
	.amdgcn_target "amdgcn-amd-amdhsa--gfx1030"
	.amdhsa_code_object_version 6
	.protected	fft_rtc_back_len1920_factors_10_6_16_2_wgs_240_tpt_120_halfLds_dp_op_CI_CI_unitstride_sbrr_C2R_dirReg ; -- Begin function fft_rtc_back_len1920_factors_10_6_16_2_wgs_240_tpt_120_halfLds_dp_op_CI_CI_unitstride_sbrr_C2R_dirReg
	.globl	fft_rtc_back_len1920_factors_10_6_16_2_wgs_240_tpt_120_halfLds_dp_op_CI_CI_unitstride_sbrr_C2R_dirReg
	.p2align	8
	.type	fft_rtc_back_len1920_factors_10_6_16_2_wgs_240_tpt_120_halfLds_dp_op_CI_CI_unitstride_sbrr_C2R_dirReg,@function
fft_rtc_back_len1920_factors_10_6_16_2_wgs_240_tpt_120_halfLds_dp_op_CI_CI_unitstride_sbrr_C2R_dirReg: ; @fft_rtc_back_len1920_factors_10_6_16_2_wgs_240_tpt_120_halfLds_dp_op_CI_CI_unitstride_sbrr_C2R_dirReg
; %bb.0:
	s_clause 0x2
	s_load_dwordx4 s[12:15], s[4:5], 0x0
	s_load_dwordx4 s[8:11], s[4:5], 0x58
	;; [unrolled: 1-line block ×3, first 2 shown]
	v_mul_u32_u24_e32 v1, 0x223, v0
	v_mov_b32_e32 v3, 0
	v_lshrrev_b32_e32 v7, 16, v1
	v_mov_b32_e32 v1, 0
	v_mov_b32_e32 v6, v3
	v_mov_b32_e32 v2, 0
	v_lshl_add_u32 v5, s6, 1, v7
	s_waitcnt lgkmcnt(0)
	v_cmp_lt_u64_e64 s0, s[14:15], 2
	s_and_b32 vcc_lo, exec_lo, s0
	s_cbranch_vccnz .LBB0_8
; %bb.1:
	s_load_dwordx2 s[0:1], s[4:5], 0x10
	v_mov_b32_e32 v1, 0
	v_mov_b32_e32 v2, 0
	s_add_u32 s2, s18, 8
	s_addc_u32 s3, s19, 0
	s_add_u32 s6, s16, 8
	s_addc_u32 s7, s17, 0
	v_mov_b32_e32 v73, v2
	v_mov_b32_e32 v72, v1
	s_mov_b64 s[22:23], 1
	s_waitcnt lgkmcnt(0)
	s_add_u32 s20, s0, 8
	s_addc_u32 s21, s1, 0
.LBB0_2:                                ; =>This Inner Loop Header: Depth=1
	s_load_dwordx2 s[24:25], s[20:21], 0x0
                                        ; implicit-def: $vgpr76_vgpr77
	s_mov_b32 s0, exec_lo
	s_waitcnt lgkmcnt(0)
	v_or_b32_e32 v4, s25, v6
	v_cmpx_ne_u64_e32 0, v[3:4]
	s_xor_b32 s1, exec_lo, s0
	s_cbranch_execz .LBB0_4
; %bb.3:                                ;   in Loop: Header=BB0_2 Depth=1
	v_cvt_f32_u32_e32 v4, s24
	v_cvt_f32_u32_e32 v8, s25
	s_sub_u32 s0, 0, s24
	s_subb_u32 s26, 0, s25
	v_fmac_f32_e32 v4, 0x4f800000, v8
	v_rcp_f32_e32 v4, v4
	v_mul_f32_e32 v4, 0x5f7ffffc, v4
	v_mul_f32_e32 v8, 0x2f800000, v4
	v_trunc_f32_e32 v8, v8
	v_fmac_f32_e32 v4, 0xcf800000, v8
	v_cvt_u32_f32_e32 v8, v8
	v_cvt_u32_f32_e32 v4, v4
	v_mul_lo_u32 v9, s0, v8
	v_mul_hi_u32 v10, s0, v4
	v_mul_lo_u32 v11, s26, v4
	v_add_nc_u32_e32 v9, v10, v9
	v_mul_lo_u32 v10, s0, v4
	v_add_nc_u32_e32 v9, v9, v11
	v_mul_hi_u32 v11, v4, v10
	v_mul_lo_u32 v12, v4, v9
	v_mul_hi_u32 v13, v4, v9
	v_mul_hi_u32 v14, v8, v10
	v_mul_lo_u32 v10, v8, v10
	v_mul_hi_u32 v15, v8, v9
	v_mul_lo_u32 v9, v8, v9
	v_add_co_u32 v11, vcc_lo, v11, v12
	v_add_co_ci_u32_e32 v12, vcc_lo, 0, v13, vcc_lo
	v_add_co_u32 v10, vcc_lo, v11, v10
	v_add_co_ci_u32_e32 v10, vcc_lo, v12, v14, vcc_lo
	v_add_co_ci_u32_e32 v11, vcc_lo, 0, v15, vcc_lo
	v_add_co_u32 v9, vcc_lo, v10, v9
	v_add_co_ci_u32_e32 v10, vcc_lo, 0, v11, vcc_lo
	v_add_co_u32 v4, vcc_lo, v4, v9
	v_add_co_ci_u32_e32 v8, vcc_lo, v8, v10, vcc_lo
	v_mul_hi_u32 v9, s0, v4
	v_mul_lo_u32 v11, s26, v4
	v_mul_lo_u32 v10, s0, v8
	v_add_nc_u32_e32 v9, v9, v10
	v_mul_lo_u32 v10, s0, v4
	v_add_nc_u32_e32 v9, v9, v11
	v_mul_hi_u32 v11, v4, v10
	v_mul_lo_u32 v12, v4, v9
	v_mul_hi_u32 v13, v4, v9
	v_mul_hi_u32 v14, v8, v10
	v_mul_lo_u32 v10, v8, v10
	v_mul_hi_u32 v15, v8, v9
	v_mul_lo_u32 v9, v8, v9
	v_add_co_u32 v11, vcc_lo, v11, v12
	v_add_co_ci_u32_e32 v12, vcc_lo, 0, v13, vcc_lo
	v_add_co_u32 v10, vcc_lo, v11, v10
	v_add_co_ci_u32_e32 v10, vcc_lo, v12, v14, vcc_lo
	v_add_co_ci_u32_e32 v11, vcc_lo, 0, v15, vcc_lo
	v_add_co_u32 v9, vcc_lo, v10, v9
	v_add_co_ci_u32_e32 v10, vcc_lo, 0, v11, vcc_lo
	v_add_co_u32 v4, vcc_lo, v4, v9
	v_add_co_ci_u32_e32 v12, vcc_lo, v8, v10, vcc_lo
	v_mul_hi_u32 v14, v5, v4
	v_mad_u64_u32 v[10:11], null, v6, v4, 0
	v_mad_u64_u32 v[8:9], null, v5, v12, 0
	v_mad_u64_u32 v[12:13], null, v6, v12, 0
	v_add_co_u32 v4, vcc_lo, v14, v8
	v_add_co_ci_u32_e32 v8, vcc_lo, 0, v9, vcc_lo
	v_add_co_u32 v4, vcc_lo, v4, v10
	v_add_co_ci_u32_e32 v4, vcc_lo, v8, v11, vcc_lo
	v_add_co_ci_u32_e32 v8, vcc_lo, 0, v13, vcc_lo
	v_add_co_u32 v4, vcc_lo, v4, v12
	v_add_co_ci_u32_e32 v10, vcc_lo, 0, v8, vcc_lo
	v_mul_lo_u32 v11, s25, v4
	v_mad_u64_u32 v[8:9], null, s24, v4, 0
	v_mul_lo_u32 v12, s24, v10
	v_sub_co_u32 v8, vcc_lo, v5, v8
	v_add3_u32 v9, v9, v12, v11
	v_sub_nc_u32_e32 v11, v6, v9
	v_subrev_co_ci_u32_e64 v11, s0, s25, v11, vcc_lo
	v_add_co_u32 v12, s0, v4, 2
	v_add_co_ci_u32_e64 v13, s0, 0, v10, s0
	v_sub_co_u32 v14, s0, v8, s24
	v_sub_co_ci_u32_e32 v9, vcc_lo, v6, v9, vcc_lo
	v_subrev_co_ci_u32_e64 v11, s0, 0, v11, s0
	v_cmp_le_u32_e32 vcc_lo, s24, v14
	v_cmp_eq_u32_e64 s0, s25, v9
	v_cndmask_b32_e64 v14, 0, -1, vcc_lo
	v_cmp_le_u32_e32 vcc_lo, s25, v11
	v_cndmask_b32_e64 v15, 0, -1, vcc_lo
	v_cmp_le_u32_e32 vcc_lo, s24, v8
	;; [unrolled: 2-line block ×3, first 2 shown]
	v_cndmask_b32_e64 v16, 0, -1, vcc_lo
	v_cmp_eq_u32_e32 vcc_lo, s25, v11
	v_cndmask_b32_e64 v8, v16, v8, s0
	v_cndmask_b32_e32 v11, v15, v14, vcc_lo
	v_add_co_u32 v14, vcc_lo, v4, 1
	v_add_co_ci_u32_e32 v15, vcc_lo, 0, v10, vcc_lo
	v_cmp_ne_u32_e32 vcc_lo, 0, v11
	v_cndmask_b32_e32 v9, v15, v13, vcc_lo
	v_cndmask_b32_e32 v11, v14, v12, vcc_lo
	v_cmp_ne_u32_e32 vcc_lo, 0, v8
	v_cndmask_b32_e32 v77, v10, v9, vcc_lo
	v_cndmask_b32_e32 v76, v4, v11, vcc_lo
.LBB0_4:                                ;   in Loop: Header=BB0_2 Depth=1
	s_andn2_saveexec_b32 s0, s1
	s_cbranch_execz .LBB0_6
; %bb.5:                                ;   in Loop: Header=BB0_2 Depth=1
	v_cvt_f32_u32_e32 v4, s24
	s_sub_i32 s1, 0, s24
	v_mov_b32_e32 v77, v3
	v_rcp_iflag_f32_e32 v4, v4
	v_mul_f32_e32 v4, 0x4f7ffffe, v4
	v_cvt_u32_f32_e32 v4, v4
	v_mul_lo_u32 v8, s1, v4
	v_mul_hi_u32 v8, v4, v8
	v_add_nc_u32_e32 v4, v4, v8
	v_mul_hi_u32 v4, v5, v4
	v_mul_lo_u32 v8, v4, s24
	v_add_nc_u32_e32 v9, 1, v4
	v_sub_nc_u32_e32 v8, v5, v8
	v_subrev_nc_u32_e32 v10, s24, v8
	v_cmp_le_u32_e32 vcc_lo, s24, v8
	v_cndmask_b32_e32 v8, v8, v10, vcc_lo
	v_cndmask_b32_e32 v4, v4, v9, vcc_lo
	v_cmp_le_u32_e32 vcc_lo, s24, v8
	v_add_nc_u32_e32 v9, 1, v4
	v_cndmask_b32_e32 v76, v4, v9, vcc_lo
.LBB0_6:                                ;   in Loop: Header=BB0_2 Depth=1
	s_or_b32 exec_lo, exec_lo, s0
	v_mul_lo_u32 v4, v77, s24
	v_mul_lo_u32 v10, v76, s25
	s_load_dwordx2 s[0:1], s[6:7], 0x0
	v_mad_u64_u32 v[8:9], null, v76, s24, 0
	s_load_dwordx2 s[24:25], s[2:3], 0x0
	s_add_u32 s22, s22, 1
	s_addc_u32 s23, s23, 0
	s_add_u32 s2, s2, 8
	s_addc_u32 s3, s3, 0
	s_add_u32 s6, s6, 8
	v_add3_u32 v4, v9, v10, v4
	v_sub_co_u32 v5, vcc_lo, v5, v8
	s_addc_u32 s7, s7, 0
	s_add_u32 s20, s20, 8
	v_sub_co_ci_u32_e32 v4, vcc_lo, v6, v4, vcc_lo
	s_addc_u32 s21, s21, 0
	s_waitcnt lgkmcnt(0)
	v_mul_lo_u32 v6, s0, v4
	v_mul_lo_u32 v8, s1, v5
	v_mad_u64_u32 v[1:2], null, s0, v5, v[1:2]
	v_mul_lo_u32 v4, s24, v4
	v_mul_lo_u32 v9, s25, v5
	v_mad_u64_u32 v[72:73], null, s24, v5, v[72:73]
	v_cmp_ge_u64_e64 s0, s[22:23], s[14:15]
	v_add3_u32 v2, v8, v2, v6
	v_add3_u32 v73, v9, v73, v4
	s_and_b32 vcc_lo, exec_lo, s0
	s_cbranch_vccnz .LBB0_9
; %bb.7:                                ;   in Loop: Header=BB0_2 Depth=1
	v_mov_b32_e32 v5, v76
	v_mov_b32_e32 v6, v77
	s_branch .LBB0_2
.LBB0_8:
	v_mov_b32_e32 v73, v2
	v_mov_b32_e32 v77, v6
	;; [unrolled: 1-line block ×4, first 2 shown]
.LBB0_9:
	s_load_dwordx2 s[0:1], s[4:5], 0x28
	v_and_b32_e32 v4, 1, v7
	v_mul_hi_u32 v3, 0x2222223, v0
	s_lshl_b64 s[4:5], s[14:15], 3
                                        ; implicit-def: $vgpr74
	s_add_u32 s2, s18, s4
	s_addc_u32 s3, s19, s5
	s_waitcnt lgkmcnt(0)
	v_cmp_gt_u64_e32 vcc_lo, s[0:1], v[76:77]
	v_cmp_le_u64_e64 s1, s[0:1], v[76:77]
	v_cmp_eq_u32_e64 s0, 1, v4
                                        ; implicit-def: $vgpr4_vgpr5
	s_and_saveexec_b32 s6, s1
	s_xor_b32 s1, exec_lo, s6
; %bb.10:
	v_mul_u32_u24_e32 v1, 0x78, v3
	v_mov_b32_e32 v75, 0
                                        ; implicit-def: $vgpr3
	v_sub_nc_u32_e32 v74, v0, v1
                                        ; implicit-def: $vgpr0
                                        ; implicit-def: $vgpr1_vgpr2
	v_mov_b32_e32 v4, v74
	v_mov_b32_e32 v5, v75
; %bb.11:
	s_or_saveexec_b32 s1, s1
	s_load_dwordx2 s[2:3], s[2:3], 0x0
	v_cndmask_b32_e64 v56, 0, 0x781, s0
	v_lshlrev_b32_e32 v83, 4, v56
	s_xor_b32 exec_lo, exec_lo, s1
	s_cbranch_execz .LBB0_15
; %bb.12:
	s_add_u32 s4, s16, s4
	s_addc_u32 s5, s17, s5
	v_lshlrev_b64 v[1:2], 4, v[1:2]
	s_load_dwordx2 s[4:5], s[4:5], 0x0
	v_mov_b32_e32 v75, 0
	s_waitcnt lgkmcnt(0)
	v_mul_lo_u32 v6, s5, v76
	v_mul_lo_u32 v7, s4, v77
	v_mad_u64_u32 v[4:5], null, s4, v76, 0
	s_mov_b32 s4, exec_lo
	v_add3_u32 v5, v5, v7, v6
	v_mul_u32_u24_e32 v6, 0x78, v3
	v_lshlrev_b64 v[3:4], 4, v[4:5]
	v_sub_nc_u32_e32 v74, v0, v6
	v_lshlrev_b32_e32 v69, 4, v74
	v_add_co_u32 v0, s0, s8, v3
	v_add_co_ci_u32_e64 v3, s0, s9, v4, s0
	v_add_co_u32 v0, s0, v0, v1
	v_add_co_ci_u32_e64 v1, s0, v3, v2, s0
	;; [unrolled: 2-line block ×3, first 2 shown]
	s_clause 0x1
	global_load_dwordx4 v[6:9], v[2:3], off
	global_load_dwordx4 v[10:13], v[2:3], off offset:1920
	v_add_co_u32 v4, s0, 0x800, v2
	v_add_co_ci_u32_e64 v5, s0, 0, v3, s0
	v_add_co_u32 v18, s0, 0x1000, v2
	v_add_co_ci_u32_e64 v19, s0, 0, v3, s0
	;; [unrolled: 2-line block ×14, first 2 shown]
	s_clause 0xd
	global_load_dwordx4 v[14:17], v[4:5], off offset:1792
	global_load_dwordx4 v[18:21], v[18:19], off offset:1664
	;; [unrolled: 1-line block ×14, first 2 shown]
	v_mov_b32_e32 v4, v74
	v_add3_u32 v2, 0, v83, v69
	v_mov_b32_e32 v5, v75
	s_waitcnt vmcnt(15)
	ds_write_b128 v2, v[6:9]
	s_waitcnt vmcnt(14)
	ds_write_b128 v2, v[10:13] offset:1920
	s_waitcnt vmcnt(13)
	ds_write_b128 v2, v[14:17] offset:3840
	s_waitcnt vmcnt(12)
	ds_write_b128 v2, v[18:21] offset:5760
	s_waitcnt vmcnt(11)
	ds_write_b128 v2, v[22:25] offset:7680
	s_waitcnt vmcnt(10)
	ds_write_b128 v2, v[26:29] offset:9600
	s_waitcnt vmcnt(9)
	ds_write_b128 v2, v[30:33] offset:11520
	s_waitcnt vmcnt(8)
	ds_write_b128 v2, v[34:37] offset:13440
	s_waitcnt vmcnt(7)
	ds_write_b128 v2, v[38:41] offset:15360
	s_waitcnt vmcnt(6)
	ds_write_b128 v2, v[42:45] offset:17280
	s_waitcnt vmcnt(5)
	ds_write_b128 v2, v[46:49] offset:19200
	s_waitcnt vmcnt(4)
	ds_write_b128 v2, v[50:53] offset:21120
	s_waitcnt vmcnt(3)
	ds_write_b128 v2, v[57:60] offset:23040
	s_waitcnt vmcnt(2)
	ds_write_b128 v2, v[61:64] offset:24960
	s_waitcnt vmcnt(1)
	ds_write_b128 v2, v[65:68] offset:26880
	s_waitcnt vmcnt(0)
	ds_write_b128 v2, v[78:81] offset:28800
	v_cmpx_eq_u32_e32 0x77, v74
	s_cbranch_execz .LBB0_14
; %bb.13:
	v_add_co_u32 v0, s0, 0x7800, v0
	v_add_co_ci_u32_e64 v1, s0, 0, v1, s0
	v_mov_b32_e32 v4, 0x77
	v_mov_b32_e32 v5, 0
	;; [unrolled: 1-line block ×3, first 2 shown]
	global_load_dwordx4 v[6:9], v[0:1], off
	s_waitcnt vmcnt(0)
	ds_write_b128 v2, v[6:9] offset:28816
.LBB0_14:
	s_or_b32 exec_lo, exec_lo, s4
.LBB0_15:
	s_or_b32 exec_lo, exec_lo, s1
	v_lshl_add_u32 v82, v56, 4, 0
	v_lshlrev_b32_e32 v0, 4, v74
	s_waitcnt lgkmcnt(0)
	s_barrier
	buffer_gl0_inv
	v_lshlrev_b64 v[78:79], 4, v[4:5]
	v_add_nc_u32_e32 v84, v82, v0
	v_sub_nc_u32_e32 v10, v82, v0
	s_add_u32 s1, s12, 0x7760
	s_addc_u32 s4, s13, 0
	ds_read_b64 v[6:7], v84
	ds_read_b64 v[8:9], v10 offset:30720
	s_mov_b32 s5, exec_lo
	s_waitcnt lgkmcnt(0)
	v_add_f64 v[0:1], v[6:7], v[8:9]
	v_add_f64 v[2:3], v[6:7], -v[8:9]
	v_cmpx_ne_u32_e32 0, v74
	s_xor_b32 s5, exec_lo, s5
	s_cbranch_execz .LBB0_17
; %bb.16:
	v_add_co_u32 v0, s0, s1, v78
	v_add_co_ci_u32_e64 v1, s0, s4, v79, s0
	v_add_f64 v[13:14], v[6:7], v[8:9]
	v_add_f64 v[8:9], v[6:7], -v[8:9]
	global_load_dwordx4 v[2:5], v[0:1], off
	ds_read_b64 v[0:1], v10 offset:30728
	ds_read_b64 v[11:12], v84 offset:8
	s_waitcnt lgkmcnt(0)
	v_add_f64 v[6:7], v[0:1], v[11:12]
	v_add_f64 v[0:1], v[11:12], -v[0:1]
	s_waitcnt vmcnt(0)
	v_fma_f64 v[11:12], v[8:9], v[4:5], v[13:14]
	v_fma_f64 v[13:14], -v[8:9], v[4:5], v[13:14]
	v_fma_f64 v[15:16], v[6:7], v[4:5], -v[0:1]
	v_fma_f64 v[17:18], v[6:7], v[4:5], v[0:1]
	v_fma_f64 v[0:1], -v[6:7], v[2:3], v[11:12]
	v_fma_f64 v[4:5], v[6:7], v[2:3], v[13:14]
	v_fma_f64 v[6:7], v[8:9], v[2:3], v[15:16]
	;; [unrolled: 1-line block ×3, first 2 shown]
	ds_write_b128 v10, v[4:7] offset:30720
.LBB0_17:
	s_andn2_saveexec_b32 s0, s5
	s_cbranch_execz .LBB0_19
; %bb.18:
	ds_read_b128 v[4:7], v82 offset:15360
	s_waitcnt lgkmcnt(0)
	v_add_f64 v[4:5], v[4:5], v[4:5]
	v_mul_f64 v[6:7], v[6:7], -2.0
	ds_write_b128 v82, v[4:7] offset:15360
.LBB0_19:
	s_or_b32 exec_lo, exec_lo, s0
	v_mov_b32_e32 v75, 0
	ds_write_b128 v84, v[0:3]
	s_mov_b32 s20, 0x134454ff
	s_mov_b32 s21, 0xbfee6f0e
	;; [unrolled: 1-line block ×3, first 2 shown]
	v_lshlrev_b64 v[80:81], 4, v[74:75]
	s_mov_b32 s6, s20
	s_mov_b32 s18, 0x4755a5e
	;; [unrolled: 1-line block ×5, first 2 shown]
	v_add_co_u32 v27, s0, s1, v80
	v_add_co_ci_u32_e64 v28, s0, s4, v81, s0
	s_mov_b32 s4, s18
	v_add_co_u32 v8, s0, 0x800, v27
	global_load_dwordx4 v[4:7], v[27:28], off offset:1920
	v_add_co_ci_u32_e64 v9, s0, 0, v28, s0
	s_mov_b32 s9, 0x3fd3c6ef
	s_mov_b32 s17, 0xbfd3c6ef
	;; [unrolled: 1-line block ×3, first 2 shown]
	global_load_dwordx4 v[11:14], v[8:9], off offset:1792
	v_add_co_u32 v8, s0, 0x1000, v27
	v_add_co_ci_u32_e64 v9, s0, 0, v28, s0
	s_mov_b32 s16, s8
	v_mul_u32_u24_e32 v195, 10, v74
	global_load_dwordx4 v[15:18], v[8:9], off offset:1664
	v_add_co_u32 v8, s0, 0x1800, v27
	v_add_co_ci_u32_e64 v9, s0, 0, v28, s0
	ds_read_b128 v[0:3], v84 offset:1920
	ds_read_b128 v[19:22], v10 offset:28800
	global_load_dwordx4 v[23:26], v[8:9], off offset:1536
	s_waitcnt lgkmcnt(0)
	v_add_f64 v[8:9], v[0:1], v[19:20]
	v_add_f64 v[29:30], v[21:22], v[2:3]
	v_add_f64 v[19:20], v[0:1], -v[19:20]
	v_add_f64 v[0:1], v[2:3], -v[21:22]
	s_waitcnt vmcnt(3)
	v_fma_f64 v[2:3], v[19:20], v[6:7], v[8:9]
	v_fma_f64 v[21:22], v[29:30], v[6:7], v[0:1]
	v_fma_f64 v[8:9], -v[19:20], v[6:7], v[8:9]
	v_fma_f64 v[31:32], v[29:30], v[6:7], -v[0:1]
	v_fma_f64 v[0:1], -v[29:30], v[4:5], v[2:3]
	v_fma_f64 v[2:3], v[19:20], v[4:5], v[21:22]
	v_fma_f64 v[6:7], v[29:30], v[4:5], v[8:9]
	;; [unrolled: 1-line block ×3, first 2 shown]
	v_add_co_u32 v19, s0, 0x2000, v27
	v_add_co_ci_u32_e64 v20, s0, 0, v28, s0
	ds_write_b128 v84, v[0:3] offset:1920
	ds_write_b128 v10, v[6:9] offset:28800
	ds_read_b128 v[0:3], v84 offset:3840
	ds_read_b128 v[4:7], v10 offset:26880
	global_load_dwordx4 v[19:22], v[19:20], off offset:1408
	s_waitcnt lgkmcnt(0)
	v_add_f64 v[8:9], v[0:1], v[4:5]
	v_add_f64 v[29:30], v[6:7], v[2:3]
	v_add_f64 v[31:32], v[0:1], -v[4:5]
	v_add_f64 v[0:1], v[2:3], -v[6:7]
	s_waitcnt vmcnt(3)
	v_fma_f64 v[2:3], v[31:32], v[13:14], v[8:9]
	v_fma_f64 v[4:5], v[29:30], v[13:14], v[0:1]
	v_fma_f64 v[6:7], -v[31:32], v[13:14], v[8:9]
	v_fma_f64 v[8:9], v[29:30], v[13:14], -v[0:1]
	v_fma_f64 v[0:1], -v[29:30], v[11:12], v[2:3]
	v_fma_f64 v[2:3], v[31:32], v[11:12], v[4:5]
	v_fma_f64 v[4:5], v[29:30], v[11:12], v[6:7]
	;; [unrolled: 1-line block ×3, first 2 shown]
	v_add_co_u32 v8, s0, 0x2800, v27
	v_add_co_ci_u32_e64 v9, s0, 0, v28, s0
	ds_write_b128 v84, v[0:3] offset:3840
	ds_write_b128 v10, v[4:7] offset:26880
	ds_read_b128 v[0:3], v84 offset:5760
	ds_read_b128 v[4:7], v10 offset:24960
	global_load_dwordx4 v[11:14], v[8:9], off offset:1280
	s_waitcnt lgkmcnt(0)
	v_add_f64 v[8:9], v[0:1], v[4:5]
	v_add_f64 v[29:30], v[6:7], v[2:3]
	v_add_f64 v[31:32], v[0:1], -v[4:5]
	v_add_f64 v[0:1], v[2:3], -v[6:7]
	s_waitcnt vmcnt(3)
	v_fma_f64 v[2:3], v[31:32], v[17:18], v[8:9]
	v_fma_f64 v[4:5], v[29:30], v[17:18], v[0:1]
	v_fma_f64 v[6:7], -v[31:32], v[17:18], v[8:9]
	v_fma_f64 v[8:9], v[29:30], v[17:18], -v[0:1]
	v_fma_f64 v[0:1], -v[29:30], v[15:16], v[2:3]
	v_fma_f64 v[2:3], v[31:32], v[15:16], v[4:5]
	v_fma_f64 v[4:5], v[29:30], v[15:16], v[6:7]
	;; [unrolled: 1-line block ×3, first 2 shown]
	v_add_co_u32 v8, s0, 0x3000, v27
	v_add_co_ci_u32_e64 v9, s0, 0, v28, s0
	s_mov_b32 s0, 0x9b97f4a8
	s_mov_b32 s1, 0x3fe9e377
	;; [unrolled: 1-line block ×3, first 2 shown]
	ds_write_b128 v84, v[0:3] offset:5760
	ds_write_b128 v10, v[4:7] offset:24960
	ds_read_b128 v[0:3], v84 offset:7680
	ds_read_b128 v[4:7], v10 offset:23040
	global_load_dwordx4 v[15:18], v[8:9], off offset:1152
	s_waitcnt lgkmcnt(0)
	v_add_f64 v[8:9], v[0:1], v[4:5]
	v_add_f64 v[27:28], v[6:7], v[2:3]
	v_add_f64 v[29:30], v[0:1], -v[4:5]
	v_add_f64 v[0:1], v[2:3], -v[6:7]
	s_waitcnt vmcnt(3)
	v_fma_f64 v[2:3], v[29:30], v[25:26], v[8:9]
	v_fma_f64 v[4:5], v[27:28], v[25:26], v[0:1]
	v_fma_f64 v[6:7], -v[29:30], v[25:26], v[8:9]
	v_fma_f64 v[8:9], v[27:28], v[25:26], -v[0:1]
	v_fma_f64 v[0:1], -v[27:28], v[23:24], v[2:3]
	v_fma_f64 v[2:3], v[29:30], v[23:24], v[4:5]
	v_fma_f64 v[4:5], v[27:28], v[23:24], v[6:7]
	v_fma_f64 v[6:7], v[29:30], v[23:24], v[8:9]
	ds_write_b128 v84, v[0:3] offset:7680
	ds_write_b128 v10, v[4:7] offset:23040
	ds_read_b128 v[0:3], v84 offset:9600
	ds_read_b128 v[4:7], v10 offset:21120
	s_waitcnt lgkmcnt(0)
	v_add_f64 v[8:9], v[0:1], v[4:5]
	v_add_f64 v[23:24], v[6:7], v[2:3]
	v_add_f64 v[25:26], v[0:1], -v[4:5]
	v_add_f64 v[0:1], v[2:3], -v[6:7]
	s_waitcnt vmcnt(2)
	v_fma_f64 v[2:3], v[25:26], v[21:22], v[8:9]
	v_fma_f64 v[4:5], v[23:24], v[21:22], v[0:1]
	v_fma_f64 v[6:7], -v[25:26], v[21:22], v[8:9]
	v_fma_f64 v[8:9], v[23:24], v[21:22], -v[0:1]
	v_fma_f64 v[0:1], -v[23:24], v[19:20], v[2:3]
	v_fma_f64 v[2:3], v[25:26], v[19:20], v[4:5]
	v_fma_f64 v[4:5], v[23:24], v[19:20], v[6:7]
	v_fma_f64 v[6:7], v[25:26], v[19:20], v[8:9]
	ds_write_b128 v84, v[0:3] offset:9600
	ds_write_b128 v10, v[4:7] offset:21120
	ds_read_b128 v[0:3], v84 offset:11520
	ds_read_b128 v[4:7], v10 offset:19200
	;; [unrolled: 18-line block ×3, first 2 shown]
	s_waitcnt lgkmcnt(0)
	v_add_f64 v[8:9], v[0:1], v[4:5]
	v_add_f64 v[11:12], v[6:7], v[2:3]
	v_add_f64 v[13:14], v[0:1], -v[4:5]
	v_add_f64 v[0:1], v[2:3], -v[6:7]
	s_waitcnt vmcnt(0)
	v_fma_f64 v[2:3], v[13:14], v[17:18], v[8:9]
	v_fma_f64 v[4:5], v[11:12], v[17:18], v[0:1]
	v_fma_f64 v[6:7], -v[13:14], v[17:18], v[8:9]
	v_fma_f64 v[8:9], v[11:12], v[17:18], -v[0:1]
	v_fma_f64 v[0:1], -v[11:12], v[15:16], v[2:3]
	v_fma_f64 v[2:3], v[13:14], v[15:16], v[4:5]
	v_fma_f64 v[4:5], v[11:12], v[15:16], v[6:7]
	;; [unrolled: 1-line block ×3, first 2 shown]
	v_lshl_add_u32 v8, v74, 4, 0
	ds_write_b128 v84, v[0:3] offset:13440
	ds_write_b128 v10, v[4:7] offset:17280
	v_add_nc_u32_e32 v75, v8, v83
	s_waitcnt lgkmcnt(0)
	s_barrier
	buffer_gl0_inv
	s_barrier
	buffer_gl0_inv
	ds_read_b128 v[0:3], v75 offset:12288
	ds_read_b128 v[4:7], v75 offset:18432
	;; [unrolled: 1-line block ×4, first 2 shown]
	ds_read_b128 v[16:19], v84
	ds_read_b128 v[20:23], v75 offset:8064
	ds_read_b128 v[24:27], v75 offset:14208
	;; [unrolled: 1-line block ×15, first 2 shown]
	s_waitcnt lgkmcnt(0)
	s_barrier
	buffer_gl0_inv
	v_add_f64 v[177:178], v[20:21], -v[24:25]
	v_add_f64 v[147:148], v[24:25], v[28:29]
	v_add_f64 v[149:150], v[20:21], v[32:33]
	;; [unrolled: 1-line block ×24, first 2 shown]
	v_add_f64 v[107:108], v[14:15], -v[10:11]
	v_add_f64 v[109:110], v[12:13], -v[0:1]
	;; [unrolled: 1-line block ×32, first 2 shown]
	v_fma_f64 v[69:70], v[69:70], -0.5, v[16:17]
	v_fma_f64 v[16:17], v[97:98], -0.5, v[16:17]
	;; [unrolled: 1-line block ×4, first 2 shown]
	v_add_f64 v[101:102], v[91:92], -v[50:51]
	v_add_f64 v[0:1], v[103:104], v[0:1]
	v_add_f64 v[2:3], v[105:106], v[2:3]
	v_add_f64 v[103:104], v[48:49], -v[89:90]
	v_add_f64 v[105:106], v[50:51], -v[91:92]
	v_fma_f64 v[127:128], v[127:128], -0.5, v[57:58]
	v_fma_f64 v[57:58], v[129:130], -0.5, v[57:58]
	;; [unrolled: 1-line block ×4, first 2 shown]
	v_add_f64 v[131:132], v[32:33], -v[28:29]
	v_add_f64 v[133:134], v[28:29], -v[32:33]
	v_add_f64 v[40:41], v[135:136], v[40:41]
	v_add_f64 v[42:43], v[137:138], v[42:43]
	v_add_f64 v[135:136], v[34:35], -v[30:31]
	v_add_f64 v[137:138], v[30:31], -v[34:35]
	v_fma_f64 v[147:148], v[147:148], -0.5, v[36:37]
	v_fma_f64 v[36:37], v[149:150], -0.5, v[36:37]
	;; [unrolled: 1-line block ×4, first 2 shown]
	v_add_f64 v[151:152], v[93:94], -v[52:53]
	v_fma_f64 v[155:156], v[155:156], -0.5, v[61:62]
	v_fma_f64 v[61:62], v[157:158], -0.5, v[61:62]
	;; [unrolled: 1-line block ×4, first 2 shown]
	v_add_f64 v[159:160], v[95:96], -v[54:55]
	v_add_f64 v[24:25], v[165:166], v[24:25]
	v_add_f64 v[26:27], v[167:168], v[26:27]
	v_add_f64 v[165:166], v[46:47], -v[54:55]
	v_add_f64 v[167:168], v[44:45], -v[52:53]
	v_add_f64 v[44:45], v[173:174], v[44:45]
	v_add_f64 v[46:47], v[175:176], v[46:47]
	v_add_f64 v[125:126], v[6:7], -v[10:11]
	v_add_f64 v[99:100], v[89:90], -v[48:49]
	;; [unrolled: 1-line block ×4, first 2 shown]
	v_add_f64 v[109:110], v[109:110], v[119:120]
	v_add_f64 v[113:114], v[113:114], v[123:124]
	;; [unrolled: 1-line block ×20, first 2 shown]
	v_fma_f64 v[42:43], v[65:66], s[6:7], v[129:130]
	v_fma_f64 v[44:45], v[139:140], s[20:21], v[127:128]
	;; [unrolled: 1-line block ×27, first 2 shown]
	v_add_f64 v[99:100], v[141:142], v[99:100]
	v_add_f64 v[14:15], v[14:15], v[125:126]
	;; [unrolled: 1-line block ×4, first 2 shown]
	v_fma_f64 v[97:98], v[12:13], s[20:21], v[97:98]
	v_fma_f64 v[141:142], v[183:184], s[6:7], v[36:37]
	v_fma_f64 v[153:154], v[165:166], s[6:7], v[61:62]
	v_fma_f64 v[61:62], v[165:166], s[20:21], v[61:62]
	v_add_f64 v[0:1], v[0:1], v[8:9]
	v_add_f64 v[2:3], v[2:3], v[10:11]
	;; [unrolled: 1-line block ×8, first 2 shown]
	v_fma_f64 v[8:9], v[107:108], s[18:19], v[54:55]
	v_fma_f64 v[10:11], v[107:108], s[4:5], v[16:17]
	;; [unrolled: 1-line block ×30, first 2 shown]
	v_add_f64 v[58:59], v[0:1], v[4:5]
	v_add_f64 v[60:61], v[2:3], v[6:7]
	v_add_f64 v[62:63], v[0:1], -v[4:5]
	v_add_f64 v[64:65], v[2:3], -v[6:7]
	v_fma_f64 v[0:1], v[101:102], s[8:9], v[18:19]
	v_fma_f64 v[2:3], v[99:100], s[8:9], v[32:33]
	v_fma_f64 v[137:138], v[113:114], s[8:9], v[40:41]
	v_fma_f64 v[4:5], v[67:68], s[8:9], v[42:43]
	v_fma_f64 v[6:7], v[103:104], s[8:9], v[44:45]
	v_fma_f64 v[16:17], v[14:15], s[8:9], v[16:17]
	v_fma_f64 v[40:41], v[67:68], s[8:9], v[46:47]
	v_fma_f64 v[12:13], v[14:15], s[8:9], v[12:13]
	v_fma_f64 v[14:15], v[103:104], s[8:9], v[48:49]
	v_fma_f64 v[42:43], v[101:102], s[8:9], v[50:51]
	v_fma_f64 v[44:45], v[87:88], s[8:9], v[129:130]
	v_fma_f64 v[46:47], v[87:88], s[8:9], v[85:86]
	v_fma_f64 v[48:49], v[99:100], s[8:9], v[69:70]
	v_fma_f64 v[50:51], v[131:132], s[8:9], v[135:136]
	v_fma_f64 v[66:67], v[131:132], s[8:9], v[133:134]
	v_fma_f64 v[68:69], v[123:124], s[8:9], v[38:39]
	v_fma_f64 v[36:37], v[171:172], s[4:5], v[36:37]
	v_fma_f64 v[95:96], v[193:194], s[4:5], v[143:144]
	v_fma_f64 v[97:98], v[193:194], s[18:19], v[145:146]
	v_fma_f64 v[18:19], v[109:110], s[8:9], v[34:35]
	v_fma_f64 v[8:9], v[111:112], s[8:9], v[8:9]
	v_fma_f64 v[10:11], v[111:112], s[8:9], v[10:11]
	v_fma_f64 v[109:110], v[109:110], s[8:9], v[52:53]
	v_fma_f64 v[111:112], v[113:114], s[8:9], v[54:55]
	v_fma_f64 v[32:33], v[105:106], s[8:9], v[89:90]
	v_mul_f64 v[38:39], v[0:1], s[18:19]
	v_mul_f64 v[52:53], v[2:3], s[4:5]
	v_fma_f64 v[34:35], v[105:106], s[8:9], v[91:92]
	v_fma_f64 v[70:71], v[119:120], s[8:9], v[93:94]
	v_mul_f64 v[54:55], v[4:5], s[20:21]
	v_mul_f64 v[4:5], v[4:5], s[8:9]
	v_fma_f64 v[85:86], v[123:124], s[8:9], v[115:116]
	v_mul_f64 v[87:88], v[40:41], s[20:21]
	v_mul_f64 v[40:41], v[40:41], s[16:17]
	v_fma_f64 v[89:90], v[125:126], s[8:9], v[117:118]
	v_fma_f64 v[91:92], v[125:126], s[8:9], v[127:128]
	v_mul_f64 v[93:94], v[42:43], s[18:19]
	v_mul_f64 v[42:43], v[42:43], s[14:15]
	;; [unrolled: 1-line block ×10, first 2 shown]
	v_fma_f64 v[36:37], v[119:120], s[8:9], v[36:37]
	v_fma_f64 v[2:3], v[2:3], s[0:1], v[38:39]
	;; [unrolled: 1-line block ×11, first 2 shown]
	v_add_f64 v[4:5], v[24:25], -v[26:27]
	v_fma_f64 v[22:23], v[48:49], s[14:15], v[93:94]
	v_fma_f64 v[121:122], v[48:49], s[4:5], v[42:43]
	;; [unrolled: 1-line block ×10, first 2 shown]
	v_add_f64 v[6:7], v[28:29], -v[30:31]
	v_add_f64 v[66:67], v[18:19], v[2:3]
	v_add_f64 v[68:69], v[137:138], v[0:1]
	v_add_f64 v[85:86], v[18:19], -v[2:3]
	v_add_f64 v[87:88], v[137:138], -v[0:1]
	v_add_f64 v[89:90], v[8:9], v[95:96]
	v_add_f64 v[91:92], v[16:17], v[97:98]
	v_add_f64 v[93:94], v[8:9], -v[95:96]
	;; [unrolled: 4-line block ×3, first 2 shown]
	v_add_f64 v[103:104], v[12:13], -v[14:15]
	v_add_f64 v[105:106], v[109:110], v[22:23]
	v_add_f64 v[109:110], v[109:110], -v[22:23]
	v_add_f64 v[0:1], v[70:71], v[123:124]
	v_add_f64 v[8:9], v[36:37], v[40:41]
	;; [unrolled: 1-line block ×3, first 2 shown]
	v_add_f64 v[20:21], v[70:71], -v[123:124]
	v_add_f64 v[22:23], v[119:120], -v[125:126]
	v_add_f64 v[12:13], v[34:35], v[42:43]
	v_add_f64 v[10:11], v[46:47], v[52:53]
	;; [unrolled: 1-line block ×3, first 2 shown]
	v_add_f64 v[16:17], v[32:33], -v[48:49]
	v_add_f64 v[18:19], v[38:39], -v[50:51]
	v_add_f64 v[107:108], v[111:112], v[121:122]
	v_add_f64 v[111:112], v[111:112], -v[121:122]
	v_lshl_add_u32 v57, v195, 4, 0
	s_mov_b32 s1, exec_lo
	v_add_nc_u32_e32 v70, v57, v83
	ds_write_b128 v70, v[58:61]
	ds_write_b128 v70, v[62:65] offset:80
	ds_write_b128 v70, v[66:69] offset:16
	;; [unrolled: 1-line block ×9, first 2 shown]
	v_cmpx_gt_u32_e32 0x48, v74
	s_cbranch_execz .LBB0_21
; %bb.20:
	v_add_f64 v[28:29], v[28:29], v[30:31]
	v_add_f64 v[26:27], v[24:25], v[26:27]
	;; [unrolled: 1-line block ×4, first 2 shown]
	v_add_f64 v[52:53], v[46:47], -v[52:53]
	v_add_f64 v[50:51], v[36:37], -v[40:41]
	;; [unrolled: 1-line block ×4, first 2 shown]
	v_lshl_add_u32 v24, v56, 4, v57
	ds_write_b128 v24, v[0:3] offset:19232
	ds_write_b128 v24, v[8:11] offset:19248
	;; [unrolled: 1-line block ×10, first 2 shown]
.LBB0_21:
	s_or_b32 exec_lo, exec_lo, s1
	s_waitcnt lgkmcnt(0)
	s_barrier
	buffer_gl0_inv
	ds_read_b128 v[28:31], v84
	ds_read_b128 v[24:27], v75 offset:1920
	ds_read_b128 v[40:43], v75 offset:5120
	ds_read_b128 v[44:47], v75 offset:7040
	ds_read_b128 v[48:51], v75 offset:10240
	ds_read_b128 v[32:35], v75 offset:12160
	ds_read_b128 v[64:67], v75 offset:15360
	ds_read_b128 v[56:59], v75 offset:17280
	ds_read_b128 v[52:55], v75 offset:20480
	ds_read_b128 v[36:39], v75 offset:22400
	ds_read_b128 v[68:71], v75 offset:25600
	ds_read_b128 v[60:63], v75 offset:27520
	v_cmp_gt_u32_e64 s0, 0x50, v74
	s_and_saveexec_b32 s1, s0
	s_cbranch_execz .LBB0_23
; %bb.22:
	ds_read_b128 v[0:3], v75 offset:3840
	ds_read_b128 v[8:11], v75 offset:8960
	;; [unrolled: 1-line block ×6, first 2 shown]
.LBB0_23:
	s_or_b32 exec_lo, exec_lo, s1
	v_and_b32_e32 v85, 0xff, v74
	v_add_nc_u16 v86, v74, 0x78
	s_mov_b32 s4, 0xe8584caa
	s_mov_b32 s5, 0xbfebb67a
	;; [unrolled: 1-line block ×3, first 2 shown]
	v_mul_lo_u16 v85, 0xcd, v85
	v_and_b32_e32 v87, 0xff, v86
	s_mov_b32 s6, s4
	v_lshrrev_b16 v135, 11, v85
	v_mul_lo_u16 v85, 0xcd, v87
	v_mul_lo_u16 v87, v135, 10
	v_lshrrev_b16 v136, 11, v85
	v_mov_b32_e32 v85, 5
	v_sub_nc_u16 v137, v74, v87
	v_mul_lo_u16 v87, v136, 10
	v_mul_u32_u24_sdwa v88, v137, v85 dst_sel:DWORD dst_unused:UNUSED_PAD src0_sel:BYTE_0 src1_sel:DWORD
	v_sub_nc_u16 v138, v86, v87
	v_lshlrev_b32_e32 v113, 4, v88
	v_mul_u32_u24_sdwa v93, v138, v85 dst_sel:DWORD dst_unused:UNUSED_PAD src0_sel:BYTE_0 src1_sel:DWORD
	s_clause 0x1
	global_load_dwordx4 v[85:88], v113, s[12:13] offset:32
	global_load_dwordx4 v[89:92], v113, s[12:13] offset:64
	v_lshlrev_b32_e32 v121, 4, v93
	s_clause 0x7
	global_load_dwordx4 v[93:96], v121, s[12:13] offset:32
	global_load_dwordx4 v[97:100], v121, s[12:13] offset:64
	global_load_dwordx4 v[101:104], v113, s[12:13]
	global_load_dwordx4 v[105:108], v121, s[12:13]
	global_load_dwordx4 v[109:112], v113, s[12:13] offset:16
	global_load_dwordx4 v[113:116], v113, s[12:13] offset:48
	;; [unrolled: 1-line block ×4, first 2 shown]
	s_waitcnt vmcnt(0) lgkmcnt(0)
	s_barrier
	buffer_gl0_inv
	v_mul_f64 v[129:130], v[56:57], v[95:96]
	v_mul_f64 v[125:126], v[64:65], v[87:88]
	;; [unrolled: 1-line block ×10, first 2 shown]
	v_fma_f64 v[58:59], v[58:59], v[93:94], -v[129:130]
	v_fma_f64 v[66:67], v[66:67], v[85:86], -v[125:126]
	;; [unrolled: 1-line block ×3, first 2 shown]
	v_mul_f64 v[125:126], v[44:45], v[107:108]
	v_fma_f64 v[62:63], v[62:63], v[97:98], -v[131:132]
	v_mul_f64 v[127:128], v[50:51], v[111:112]
	v_mul_f64 v[111:112], v[48:49], v[111:112]
	;; [unrolled: 1-line block ×4, first 2 shown]
	v_fma_f64 v[64:65], v[64:65], v[85:86], v[87:88]
	v_fma_f64 v[68:69], v[68:69], v[89:90], v[91:92]
	v_fma_f64 v[42:43], v[42:43], v[101:102], -v[133:134]
	v_mul_f64 v[107:108], v[46:47], v[107:108]
	v_mul_f64 v[131:132], v[34:35], v[119:120]
	;; [unrolled: 1-line block ×5, first 2 shown]
	v_fma_f64 v[56:57], v[56:57], v[93:94], v[95:96]
	v_fma_f64 v[60:61], v[60:61], v[97:98], v[99:100]
	;; [unrolled: 1-line block ×3, first 2 shown]
	v_add_f64 v[85:86], v[66:67], v[70:71]
	v_fma_f64 v[46:47], v[46:47], v[105:106], -v[125:126]
	v_add_f64 v[93:94], v[58:59], v[62:63]
	v_fma_f64 v[48:49], v[48:49], v[109:110], v[127:128]
	v_fma_f64 v[50:51], v[50:51], v[109:110], -v[111:112]
	v_fma_f64 v[52:53], v[52:53], v[113:114], v[129:130]
	v_fma_f64 v[54:55], v[54:55], v[113:114], -v[115:116]
	v_and_b32_e32 v109, 0xffff, v135
	v_add_f64 v[95:96], v[64:65], v[68:69]
	v_add_f64 v[97:98], v[64:65], -v[68:69]
	v_fma_f64 v[44:45], v[44:45], v[105:106], v[107:108]
	v_fma_f64 v[99:100], v[32:33], v[117:118], v[131:132]
	v_fma_f64 v[33:34], v[34:35], v[117:118], -v[87:88]
	v_fma_f64 v[35:36], v[36:37], v[121:122], v[89:90]
	v_fma_f64 v[37:38], v[38:39], v[121:122], -v[91:92]
	v_mad_u32_u24 v115, 0x3c0, v109, 0
	v_add_f64 v[87:88], v[56:57], v[60:61]
	v_add_f64 v[89:90], v[56:57], -v[60:61]
	v_add_f64 v[107:108], v[66:67], -v[70:71]
	;; [unrolled: 1-line block ×3, first 2 shown]
	v_mov_b32_e32 v32, 4
	v_fma_f64 v[85:86], v[85:86], -0.5, v[42:43]
	v_fma_f64 v[91:92], v[93:94], -0.5, v[46:47]
	v_add_f64 v[93:94], v[28:29], v[48:49]
	v_add_f64 v[105:106], v[30:31], v[50:51]
	;; [unrolled: 1-line block ×3, first 2 shown]
	v_add_f64 v[103:104], v[50:51], -v[54:55]
	v_add_f64 v[50:51], v[50:51], v[54:55]
	v_fma_f64 v[95:96], v[95:96], -0.5, v[40:41]
	v_add_f64 v[39:40], v[40:41], v[64:65]
	v_add_f64 v[41:42], v[42:43], v[66:67]
	v_add_f64 v[48:49], v[48:49], -v[52:53]
	v_add_f64 v[64:65], v[99:100], v[35:36]
	v_add_f64 v[113:114], v[33:34], -v[37:38]
	v_fma_f64 v[87:88], v[87:88], -0.5, v[44:45]
	v_add_f64 v[43:44], v[44:45], v[56:57]
	v_add_f64 v[45:46], v[46:47], v[58:59]
	v_fma_f64 v[109:110], v[97:98], s[6:7], v[85:86]
	v_fma_f64 v[85:86], v[97:98], s[4:5], v[85:86]
	v_add_f64 v[97:98], v[33:34], v[37:38]
	v_fma_f64 v[66:67], v[89:90], s[6:7], v[91:92]
	v_fma_f64 v[89:90], v[89:90], s[4:5], v[91:92]
	v_add_f64 v[91:92], v[24:25], v[99:100]
	v_add_f64 v[33:34], v[26:27], v[33:34]
	v_fma_f64 v[28:29], v[101:102], -0.5, v[28:29]
	v_fma_f64 v[30:31], v[50:51], -0.5, v[30:31]
	v_fma_f64 v[50:51], v[107:108], s[4:5], v[95:96]
	v_fma_f64 v[56:57], v[107:108], s[6:7], v[95:96]
	v_add_f64 v[52:53], v[93:94], v[52:53]
	v_add_f64 v[99:100], v[99:100], -v[35:36]
	v_fma_f64 v[24:25], v[64:65], -0.5, v[24:25]
	v_add_f64 v[54:55], v[105:106], v[54:55]
	v_add_f64 v[39:40], v[39:40], v[68:69]
	v_fma_f64 v[64:65], v[111:112], s[4:5], v[87:88]
	v_fma_f64 v[87:88], v[111:112], s[6:7], v[87:88]
	v_add_f64 v[41:42], v[41:42], v[70:71]
	v_mul_f64 v[58:59], v[109:110], s[4:5]
	v_mul_f64 v[95:96], v[109:110], 0.5
	v_mul_f64 v[93:94], v[85:86], s[4:5]
	v_mul_f64 v[85:86], v[85:86], -0.5
	v_fma_f64 v[26:27], v[97:98], -0.5, v[26:27]
	v_mul_f64 v[97:98], v[66:67], s[4:5]
	v_mul_f64 v[66:67], v[66:67], 0.5
	v_mul_f64 v[101:102], v[89:90], s[4:5]
	v_mul_f64 v[89:90], v[89:90], -0.5
	v_add_f64 v[68:69], v[91:92], v[35:36]
	v_add_f64 v[70:71], v[33:34], v[37:38]
	;; [unrolled: 1-line block ×4, first 2 shown]
	v_fma_f64 v[60:61], v[103:104], s[4:5], v[28:29]
	v_fma_f64 v[91:92], v[48:49], s[6:7], v[30:31]
	;; [unrolled: 1-line block ×5, first 2 shown]
	v_add_f64 v[28:29], v[52:53], -v[39:40]
	v_add_f64 v[30:31], v[54:55], -v[41:42]
	v_fma_f64 v[58:59], v[50:51], 0.5, v[58:59]
	v_fma_f64 v[95:96], v[50:51], s[6:7], v[95:96]
	v_fma_f64 v[93:94], v[56:57], -0.5, v[93:94]
	v_fma_f64 v[56:57], v[56:57], s[6:7], v[85:86]
	v_fma_f64 v[85:86], v[113:114], s[4:5], v[24:25]
	;; [unrolled: 1-line block ×3, first 2 shown]
	v_fma_f64 v[97:98], v[64:65], 0.5, v[97:98]
	v_fma_f64 v[109:110], v[64:65], s[6:7], v[66:67]
	v_fma_f64 v[99:100], v[99:100], s[4:5], v[26:27]
	v_fma_f64 v[101:102], v[87:88], -0.5, v[101:102]
	v_fma_f64 v[87:88], v[87:88], s[6:7], v[89:90]
	v_add_f64 v[24:25], v[52:53], v[39:40]
	v_add_f64 v[26:27], v[54:55], v[41:42]
	;; [unrolled: 1-line block ×3, first 2 shown]
	v_add_f64 v[39:40], v[70:71], -v[43:44]
	v_add_f64 v[33:34], v[68:69], v[37:38]
	v_add_f64 v[37:38], v[68:69], -v[37:38]
	v_and_b32_e32 v89, 0xffff, v136
	v_lshlrev_b32_sdwa v90, v32, v137 dst_sel:DWORD dst_unused:UNUSED_PAD src0_sel:DWORD src1_sel:BYTE_0
	v_lshlrev_b32_sdwa v70, v32, v138 dst_sel:DWORD dst_unused:UNUSED_PAD src0_sel:DWORD src1_sel:BYTE_0
	v_mad_u32_u24 v69, 0x3c0, v89, 0
	v_add_f64 v[41:42], v[60:61], v[58:59]
	v_add_f64 v[43:44], v[91:92], v[95:96]
	;; [unrolled: 1-line block ×4, first 2 shown]
	v_add_f64 v[49:50], v[60:61], -v[58:59]
	v_add_f64 v[51:52], v[91:92], -v[95:96]
	;; [unrolled: 1-line block ×4, first 2 shown]
	v_add_f64 v[57:58], v[85:86], v[97:98]
	v_add_f64 v[59:60], v[107:108], v[109:110]
	;; [unrolled: 1-line block ×4, first 2 shown]
	v_add_f64 v[65:66], v[85:86], -v[97:98]
	v_add_f64 v[67:68], v[107:108], -v[109:110]
	;; [unrolled: 1-line block ×4, first 2 shown]
	v_add3_u32 v71, v115, v90, v83
	v_add3_u32 v69, v69, v70, v83
	ds_write_b128 v71, v[24:27]
	ds_write_b128 v71, v[28:31] offset:480
	ds_write_b128 v71, v[41:44] offset:160
	;; [unrolled: 1-line block ×5, first 2 shown]
	ds_write_b128 v69, v[33:36]
	ds_write_b128 v69, v[37:40] offset:480
	ds_write_b128 v69, v[57:60] offset:160
	;; [unrolled: 1-line block ×5, first 2 shown]
	s_and_saveexec_b32 s1, s0
	s_cbranch_execz .LBB0_25
; %bb.24:
	v_add_nc_u32_e32 v24, 0xf0, v74
	v_mov_b32_e32 v25, 0xcccd
	v_mul_u32_u24_sdwa v25, v24, v25 dst_sel:DWORD dst_unused:UNUSED_PAD src0_sel:WORD_0 src1_sel:DWORD
	v_lshrrev_b32_e32 v51, 19, v25
	v_mul_lo_u16 v25, v51, 10
	v_sub_nc_u16 v24, v24, v25
	v_and_b32_e32 v52, 0xffff, v24
	v_mul_u32_u24_e32 v24, 5, v52
	v_lshlrev_b32_e32 v41, 4, v24
	s_clause 0x4
	global_load_dwordx4 v[24:27], v41, s[12:13] offset:32
	global_load_dwordx4 v[28:31], v41, s[12:13] offset:64
	global_load_dwordx4 v[33:36], v41, s[12:13]
	global_load_dwordx4 v[37:40], v41, s[12:13] offset:16
	global_load_dwordx4 v[41:44], v41, s[12:13] offset:48
	s_waitcnt vmcnt(4)
	v_mul_f64 v[45:46], v[4:5], v[26:27]
	s_waitcnt vmcnt(3)
	v_mul_f64 v[47:48], v[20:21], v[30:31]
	v_mul_f64 v[26:27], v[6:7], v[26:27]
	;; [unrolled: 1-line block ×3, first 2 shown]
	s_waitcnt vmcnt(2)
	v_mul_f64 v[49:50], v[8:9], v[35:36]
	v_mul_f64 v[35:36], v[10:11], v[35:36]
	v_fma_f64 v[6:7], v[6:7], v[24:25], -v[45:46]
	v_fma_f64 v[22:23], v[22:23], v[28:29], -v[47:48]
	s_waitcnt vmcnt(1)
	v_mul_f64 v[45:46], v[12:13], v[39:40]
	s_waitcnt vmcnt(0)
	v_mul_f64 v[47:48], v[16:17], v[43:44]
	v_fma_f64 v[4:5], v[4:5], v[24:25], v[26:27]
	v_fma_f64 v[20:21], v[20:21], v[28:29], v[30:31]
	v_fma_f64 v[10:11], v[10:11], v[33:34], -v[49:50]
	v_mul_f64 v[26:27], v[14:15], v[39:40]
	v_mul_f64 v[28:29], v[18:19], v[43:44]
	v_fma_f64 v[8:9], v[8:9], v[33:34], v[35:36]
	v_add_f64 v[24:25], v[6:7], v[22:23]
	v_fma_f64 v[14:15], v[14:15], v[37:38], -v[45:46]
	v_fma_f64 v[18:19], v[18:19], v[41:42], -v[47:48]
	v_add_f64 v[30:31], v[4:5], v[20:21]
	v_add_f64 v[33:34], v[4:5], -v[20:21]
	v_fma_f64 v[12:13], v[12:13], v[37:38], v[26:27]
	v_fma_f64 v[16:17], v[16:17], v[41:42], v[28:29]
	v_add_f64 v[28:29], v[6:7], -v[22:23]
	v_add_f64 v[6:7], v[10:11], v[6:7]
	v_add_f64 v[4:5], v[8:9], v[4:5]
	v_fma_f64 v[24:25], v[24:25], -0.5, v[10:11]
	v_add_f64 v[39:40], v[2:3], v[14:15]
	v_add_f64 v[26:27], v[14:15], v[18:19]
	v_add_f64 v[10:11], v[14:15], -v[18:19]
	v_fma_f64 v[30:31], v[30:31], -0.5, v[8:9]
	v_add_f64 v[37:38], v[12:13], -v[16:17]
	v_add_f64 v[6:7], v[6:7], v[22:23]
	v_add_f64 v[4:5], v[4:5], v[20:21]
	v_fma_f64 v[35:36], v[33:34], s[4:5], v[24:25]
	v_fma_f64 v[24:25], v[33:34], s[6:7], v[24:25]
	v_add_f64 v[33:34], v[12:13], v[16:17]
	v_add_f64 v[12:13], v[0:1], v[12:13]
	v_fma_f64 v[2:3], v[26:27], -0.5, v[2:3]
	v_fma_f64 v[8:9], v[28:29], s[6:7], v[30:31]
	v_fma_f64 v[14:15], v[28:29], s[4:5], v[30:31]
	v_add_f64 v[18:19], v[39:40], v[18:19]
	v_mul_f64 v[26:27], v[35:36], -0.5
	v_mul_f64 v[28:29], v[24:25], 0.5
	v_fma_f64 v[0:1], v[33:34], -0.5, v[0:1]
	v_mul_f64 v[24:25], v[24:25], s[4:5]
	v_mul_f64 v[30:31], v[35:36], s[4:5]
	v_add_f64 v[12:13], v[12:13], v[16:17]
	v_fma_f64 v[16:17], v[37:38], s[4:5], v[2:3]
	v_fma_f64 v[20:21], v[37:38], s[6:7], v[2:3]
	v_add_f64 v[2:3], v[18:19], -v[6:7]
	v_add_f64 v[6:7], v[18:19], v[6:7]
	v_fma_f64 v[22:23], v[8:9], s[6:7], v[26:27]
	v_fma_f64 v[26:27], v[14:15], s[6:7], v[28:29]
	;; [unrolled: 1-line block ×3, first 2 shown]
	v_fma_f64 v[24:25], v[14:15], 0.5, v[24:25]
	v_fma_f64 v[28:29], v[10:11], s[6:7], v[0:1]
	v_fma_f64 v[8:9], v[8:9], -0.5, v[30:31]
	v_add_f64 v[0:1], v[12:13], -v[4:5]
	v_add_f64 v[4:5], v[12:13], v[4:5]
	v_add_f64 v[10:11], v[16:17], -v[22:23]
	v_add_f64 v[14:15], v[20:21], -v[26:27]
	v_add_f64 v[18:19], v[16:17], v[22:23]
	v_add_f64 v[22:23], v[20:21], v[26:27]
	;; [unrolled: 1-line block ×4, first 2 shown]
	v_add_f64 v[12:13], v[33:34], -v[24:25]
	v_add_f64 v[8:9], v[28:29], -v[8:9]
	v_mul_lo_u16 v24, v51, 60
	v_lshl_add_u32 v25, v52, 4, 0
	v_lshlrev_b32_sdwa v24, v32, v24 dst_sel:DWORD dst_unused:UNUSED_PAD src0_sel:DWORD src1_sel:WORD_0
	v_add3_u32 v24, v25, v24, v83
	ds_write_b128 v24, v[4:7]
	ds_write_b128 v24, v[0:3] offset:480
	ds_write_b128 v24, v[20:23] offset:160
	;; [unrolled: 1-line block ×5, first 2 shown]
.LBB0_25:
	s_or_b32 exec_lo, exec_lo, s1
	v_subrev_nc_u32_e32 v0, 60, v74
	v_cmp_gt_u32_e64 s0, 60, v74
	v_mov_b32_e32 v1, 0
	s_waitcnt lgkmcnt(0)
	s_barrier
	buffer_gl0_inv
	v_cndmask_b32_e64 v2, v0, v74, s0
	s_mov_b32 s4, 0x667f3bcd
	s_mov_b32 s5, 0xbfe6a09e
	;; [unrolled: 1-line block ×4, first 2 shown]
	v_mul_i32_i24_e32 v0, 15, v2
	s_mov_b32 s8, 0xcf328d46
	s_mov_b32 s9, 0xbfed906b
	;; [unrolled: 1-line block ×4, first 2 shown]
	v_lshlrev_b64 v[3:4], 4, v[0:1]
	s_mov_b32 s14, 0xa6aea964
	s_mov_b32 s15, 0x3fd87de2
	;; [unrolled: 1-line block ×4, first 2 shown]
	v_add_co_u32 v59, s0, s12, v3
	v_add_co_ci_u32_e64 v60, s0, s13, v4, s0
	v_cmp_lt_u32_e64 s0, 59, v74
	s_clause 0xe
	global_load_dwordx4 v[3:6], v[59:60], off offset:800
	global_load_dwordx4 v[7:10], v[59:60], off offset:816
	;; [unrolled: 1-line block ×15, first 2 shown]
	ds_read_b128 v[63:66], v75 offset:1920
	ds_read_b128 v[67:70], v75 offset:3840
	;; [unrolled: 1-line block ×5, first 2 shown]
	ds_read_b128 v[97:100], v84
	ds_read_b128 v[101:104], v75 offset:11520
	ds_read_b128 v[105:108], v75 offset:13440
	;; [unrolled: 1-line block ×10, first 2 shown]
	v_cndmask_b32_e64 v0, 0, 0x3c0, s0
	v_add_co_u32 v71, s0, s12, v78
	s_waitcnt vmcnt(0) lgkmcnt(0)
	s_barrier
	v_or_b32_e32 v0, v0, v2
	buffer_gl0_inv
	v_lshlrev_b32_e32 v0, 4, v0
	v_add3_u32 v0, 0, v0, v83
	v_mul_f64 v[141:142], v[65:66], v[5:6]
	v_mul_f64 v[5:6], v[63:64], v[5:6]
	;; [unrolled: 1-line block ×30, first 2 shown]
	v_fma_f64 v[63:64], v[63:64], v[3:4], v[141:142]
	v_fma_f64 v[3:4], v[65:66], v[3:4], -v[5:6]
	v_fma_f64 v[5:6], v[67:68], v[7:8], v[143:144]
	v_fma_f64 v[7:8], v[69:70], v[7:8], -v[9:10]
	v_fma_f64 v[9:10], v[85:86], v[11:12], v[145:146]
	v_fma_f64 v[11:12], v[87:88], v[11:12], -v[13:14]
	v_fma_f64 v[13:14], v[89:90], v[15:16], v[147:148]
	v_fma_f64 v[15:16], v[91:92], v[15:16], -v[17:18]
	v_fma_f64 v[17:18], v[93:94], v[19:20], v[149:150]
	v_fma_f64 v[19:20], v[95:96], v[19:20], -v[21:22]
	v_fma_f64 v[21:22], v[101:102], v[23:24], v[151:152]
	v_fma_f64 v[23:24], v[103:104], v[23:24], -v[25:26]
	v_fma_f64 v[25:26], v[105:106], v[27:28], v[153:154]
	v_fma_f64 v[27:28], v[107:108], v[27:28], -v[29:30]
	v_fma_f64 v[29:30], v[109:110], v[31:32], v[155:156]
	v_fma_f64 v[31:32], v[111:112], v[31:32], -v[33:34]
	v_fma_f64 v[33:34], v[125:126], v[47:48], v[163:164]
	v_fma_f64 v[47:48], v[127:128], v[47:48], -v[49:50]
	v_fma_f64 v[49:50], v[117:118], v[39:40], v[159:160]
	v_fma_f64 v[39:40], v[119:120], v[39:40], -v[41:42]
	v_fma_f64 v[41:42], v[133:134], v[55:56], v[167:168]
	v_fma_f64 v[55:56], v[135:136], v[55:56], -v[57:58]
	v_fma_f64 v[57:58], v[113:114], v[35:36], v[157:158]
	v_fma_f64 v[35:36], v[115:116], v[35:36], -v[37:38]
	v_fma_f64 v[37:38], v[129:130], v[51:52], v[165:166]
	v_fma_f64 v[51:52], v[131:132], v[51:52], -v[53:54]
	v_fma_f64 v[53:54], v[121:122], v[43:44], v[161:162]
	v_fma_f64 v[43:44], v[123:124], v[43:44], -v[45:46]
	v_fma_f64 v[45:46], v[139:140], v[59:60], -v[61:62]
	v_fma_f64 v[59:60], v[137:138], v[59:60], v[169:170]
	v_add_f64 v[29:30], v[97:98], -v[29:30]
	v_add_f64 v[31:32], v[99:100], -v[31:32]
	;; [unrolled: 1-line block ×16, first 2 shown]
	v_fma_f64 v[61:62], v[97:98], 2.0, -v[29:30]
	v_fma_f64 v[65:66], v[99:100], 2.0, -v[31:32]
	v_add_f64 v[69:70], v[31:32], -v[33:34]
	v_add_f64 v[67:68], v[29:30], v[47:48]
	v_fma_f64 v[13:14], v[13:14], 2.0, -v[33:34]
	v_fma_f64 v[15:16], v[15:16], 2.0, -v[47:48]
	v_add_f64 v[87:88], v[39:40], -v[41:42]
	v_add_f64 v[85:86], v[49:50], v[55:56]
	;; [unrolled: 4-line block ×3, first 2 shown]
	v_fma_f64 v[21:22], v[21:22], 2.0, -v[41:42]
	v_fma_f64 v[23:24], v[23:24], 2.0, -v[55:56]
	v_add_f64 v[93:94], v[53:54], v[45:46]
	v_add_f64 v[95:96], v[43:44], -v[59:60]
	v_fma_f64 v[33:34], v[63:64], 2.0, -v[57:58]
	v_fma_f64 v[3:4], v[3:4], 2.0, -v[35:36]
	;; [unrolled: 1-line block ×10, first 2 shown]
	v_add_f64 v[13:14], v[61:62], -v[13:14]
	v_add_f64 v[15:16], v[65:66], -v[15:16]
	v_fma_f64 v[39:40], v[39:40], 2.0, -v[87:88]
	v_fma_f64 v[37:38], v[49:50], 2.0, -v[85:86]
	v_fma_f64 v[47:48], v[85:86], s[6:7], v[67:68]
	v_fma_f64 v[49:50], v[87:88], s[6:7], v[69:70]
	v_fma_f64 v[35:36], v[35:36], 2.0, -v[91:92]
	v_fma_f64 v[41:42], v[57:58], 2.0, -v[89:90]
	v_add_f64 v[21:22], v[5:6], -v[21:22]
	v_add_f64 v[23:24], v[7:8], -v[23:24]
	v_fma_f64 v[45:46], v[53:54], 2.0, -v[93:94]
	v_fma_f64 v[43:44], v[43:44], 2.0, -v[95:96]
	v_fma_f64 v[51:52], v[93:94], s[6:7], v[89:90]
	v_fma_f64 v[53:54], v[95:96], s[6:7], v[91:92]
	v_add_f64 v[17:18], v[33:34], -v[17:18]
	v_add_f64 v[19:20], v[3:4], -v[19:20]
	v_add_co_ci_u32_e64 v99, s0, s13, v79, s0
	v_add_f64 v[25:26], v[9:10], -v[25:26]
	v_add_f64 v[27:28], v[11:12], -v[27:28]
	v_add_co_u32 v115, s0, s12, v80
	v_fma_f64 v[61:62], v[61:62], 2.0, -v[13:14]
	v_fma_f64 v[65:66], v[65:66], 2.0, -v[15:16]
	v_fma_f64 v[57:58], v[39:40], s[4:5], v[31:32]
	v_fma_f64 v[55:56], v[37:38], s[4:5], v[29:30]
	v_fma_f64 v[47:48], v[87:88], s[6:7], v[47:48]
	v_fma_f64 v[49:50], v[85:86], s[4:5], v[49:50]
	v_add_co_ci_u32_e64 v116, s0, s13, v81, s0
	v_fma_f64 v[5:6], v[5:6], 2.0, -v[21:22]
	v_fma_f64 v[7:8], v[7:8], 2.0, -v[23:24]
	v_fma_f64 v[59:60], v[45:46], s[4:5], v[41:42]
	v_fma_f64 v[63:64], v[43:44], s[4:5], v[35:36]
	v_add_f64 v[78:79], v[13:14], v[23:24]
	v_add_f64 v[97:98], v[15:16], -v[21:22]
	v_fma_f64 v[33:34], v[33:34], 2.0, -v[17:18]
	v_fma_f64 v[3:4], v[3:4], 2.0, -v[19:20]
	;; [unrolled: 1-line block ×4, first 2 shown]
	v_add_f64 v[21:22], v[17:18], v[27:28]
	v_add_f64 v[23:24], v[19:20], -v[25:26]
	v_fma_f64 v[25:26], v[95:96], s[6:7], v[51:52]
	v_fma_f64 v[27:28], v[93:94], s[4:5], v[53:54]
	;; [unrolled: 1-line block ×4, first 2 shown]
	v_fma_f64 v[55:56], v[67:68], 2.0, -v[47:48]
	v_fma_f64 v[57:58], v[69:70], 2.0, -v[49:50]
	v_fma_f64 v[37:38], v[43:44], s[6:7], v[59:60]
	v_fma_f64 v[39:40], v[45:46], s[4:5], v[63:64]
	v_add_f64 v[43:44], v[61:62], -v[5:6]
	v_add_f64 v[45:46], v[65:66], -v[7:8]
	v_fma_f64 v[51:52], v[13:14], 2.0, -v[78:79]
	v_fma_f64 v[53:54], v[15:16], 2.0, -v[97:98]
	v_add_f64 v[5:6], v[33:34], -v[9:10]
	v_add_f64 v[7:8], v[3:4], -v[11:12]
	v_fma_f64 v[59:60], v[17:18], 2.0, -v[21:22]
	v_fma_f64 v[18:19], v[19:20], 2.0, -v[23:24]
	;; [unrolled: 1-line block ×6, first 2 shown]
	v_fma_f64 v[9:10], v[21:22], s[6:7], v[78:79]
	v_fma_f64 v[11:12], v[23:24], s[6:7], v[97:98]
	v_fma_f64 v[13:14], v[25:26], s[18:19], v[47:48]
	v_fma_f64 v[15:16], v[27:28], s[18:19], v[49:50]
	v_add_co_u32 v89, s0, 0x3800, v71
	v_fma_f64 v[41:42], v[41:42], 2.0, -v[37:38]
	v_fma_f64 v[30:31], v[35:36], 2.0, -v[39:40]
	;; [unrolled: 1-line block ×4, first 2 shown]
	v_add_co_ci_u32_e64 v90, s0, 0, v99, s0
	v_fma_f64 v[103:104], v[37:38], s[14:15], v[85:86]
	v_fma_f64 v[105:106], v[39:40], s[14:15], v[87:88]
	v_fma_f64 v[32:33], v[33:34], 2.0, -v[5:6]
	v_fma_f64 v[34:35], v[3:4], 2.0, -v[7:8]
	v_fma_f64 v[93:94], v[59:60], s[4:5], v[51:52]
	v_fma_f64 v[95:96], v[18:19], s[4:5], v[53:54]
	;; [unrolled: 1-line block ×4, first 2 shown]
	v_add_f64 v[2:3], v[43:44], v[7:8]
	v_add_f64 v[4:5], v[45:46], -v[5:6]
	v_fma_f64 v[6:7], v[23:24], s[6:7], v[9:10]
	v_fma_f64 v[8:9], v[21:22], s[4:5], v[11:12]
	;; [unrolled: 1-line block ×4, first 2 shown]
	v_add_co_u32 v91, s0, 0x4000, v115
	v_fma_f64 v[107:108], v[41:42], s[8:9], v[69:70]
	v_fma_f64 v[109:110], v[30:31], s[8:9], v[80:81]
	v_add_co_ci_u32_e64 v92, s0, 0, v116, s0
	v_add_co_u32 v111, s0, 0x4800, v115
	v_fma_f64 v[26:27], v[39:40], s[18:19], v[103:104]
	v_fma_f64 v[28:29], v[37:38], s[8:9], v[105:106]
	v_add_f64 v[14:15], v[61:62], -v[32:33]
	v_add_f64 v[16:17], v[65:66], -v[34:35]
	v_fma_f64 v[18:19], v[18:19], s[6:7], v[93:94]
	v_fma_f64 v[20:21], v[59:60], s[4:5], v[95:96]
	;; [unrolled: 1-line block ×4, first 2 shown]
	v_fma_f64 v[34:35], v[43:44], 2.0, -v[2:3]
	v_fma_f64 v[36:37], v[45:46], 2.0, -v[4:5]
	;; [unrolled: 1-line block ×3, first 2 shown]
	v_add_co_ci_u32_e64 v112, s0, 0, v116, s0
	v_fma_f64 v[44:45], v[49:50], 2.0, -v[12:13]
	v_add_co_u32 v113, s0, 0x5000, v115
	v_fma_f64 v[30:31], v[30:31], s[14:15], v[107:108]
	v_fma_f64 v[32:33], v[41:42], s[16:17], v[109:110]
	v_fma_f64 v[40:41], v[97:98], 2.0, -v[8:9]
	v_fma_f64 v[42:43], v[47:48], 2.0, -v[10:11]
	v_add_co_ci_u32_e64 v114, s0, 0, v116, s0
	v_add_co_u32 v67, s0, 0x5800, v115
	v_fma_f64 v[46:47], v[61:62], 2.0, -v[14:15]
	v_fma_f64 v[48:49], v[65:66], 2.0, -v[16:17]
	;; [unrolled: 1-line block ×8, first 2 shown]
	v_add_co_ci_u32_e64 v68, s0, 0, v116, s0
	v_fma_f64 v[62:63], v[69:70], 2.0, -v[30:31]
	v_fma_f64 v[64:65], v[80:81], 2.0, -v[32:33]
	v_add_co_u32 v69, s0, 0x6000, v115
	v_add_co_ci_u32_e64 v70, s0, 0, v116, s0
	ds_write_b128 v0, v[2:5] offset:11520
	ds_write_b128 v0, v[6:9] offset:13440
	;; [unrolled: 1-line block ×10, first 2 shown]
	ds_write_b128 v0, v[46:49]
	ds_write_b128 v0, v[50:53] offset:1920
	ds_write_b128 v0, v[54:57] offset:2880
	;; [unrolled: 1-line block ×5, first 2 shown]
	v_add_co_u32 v30, s0, 0x6800, v115
	s_waitcnt lgkmcnt(0)
	s_barrier
	buffer_gl0_inv
	s_clause 0x3
	global_load_dwordx4 v[2:5], v[89:90], off offset:864
	global_load_dwordx4 v[6:9], v[91:92], off offset:736
	;; [unrolled: 1-line block ×4, first 2 shown]
	v_add_co_ci_u32_e64 v31, s0, 0, v116, s0
	s_clause 0x3
	global_load_dwordx4 v[18:21], v[67:68], off offset:352
	global_load_dwordx4 v[22:25], v[69:70], off offset:224
	;; [unrolled: 1-line block ×4, first 2 shown]
	ds_read_b128 v[34:37], v75 offset:15360
	ds_read_b128 v[38:41], v75 offset:17280
	;; [unrolled: 1-line block ×8, first 2 shown]
	ds_read_b128 v[66:69], v84
	ds_read_b128 v[78:81], v75 offset:1920
	ds_read_b128 v[83:86], v75 offset:3840
	ds_read_b128 v[87:90], v75 offset:5760
	ds_read_b128 v[91:94], v75 offset:7680
	ds_read_b128 v[95:98], v75 offset:9600
	s_waitcnt vmcnt(7) lgkmcnt(13)
	v_mul_f64 v[70:71], v[36:37], v[4:5]
	v_mul_f64 v[4:5], v[34:35], v[4:5]
	s_waitcnt vmcnt(6) lgkmcnt(12)
	v_mul_f64 v[99:100], v[40:41], v[8:9]
	v_mul_f64 v[8:9], v[38:39], v[8:9]
	;; [unrolled: 3-line block ×8, first 2 shown]
	v_fma_f64 v[34:35], v[34:35], v[2:3], v[70:71]
	v_fma_f64 v[36:37], v[36:37], v[2:3], -v[4:5]
	v_fma_f64 v[38:39], v[38:39], v[6:7], v[99:100]
	v_fma_f64 v[40:41], v[40:41], v[6:7], -v[8:9]
	;; [unrolled: 2-line block ×8, first 2 shown]
	ds_read_b128 v[2:5], v75 offset:11520
	ds_read_b128 v[6:9], v75 offset:13440
	s_waitcnt lgkmcnt(0)
	s_barrier
	buffer_gl0_inv
	v_add_f64 v[10:11], v[66:67], -v[34:35]
	v_add_f64 v[12:13], v[68:69], -v[36:37]
	;; [unrolled: 1-line block ×16, first 2 shown]
	v_fma_f64 v[42:43], v[66:67], 2.0, -v[10:11]
	v_fma_f64 v[44:45], v[68:69], 2.0, -v[12:13]
	;; [unrolled: 1-line block ×16, first 2 shown]
	ds_write_b128 v75, v[10:13] offset:15360
	ds_write_b128 v75, v[14:17] offset:17280
	;; [unrolled: 1-line block ×8, first 2 shown]
	ds_write_b128 v75, v[42:45]
	ds_write_b128 v75, v[46:49] offset:1920
	ds_write_b128 v75, v[50:53] offset:3840
	;; [unrolled: 1-line block ×7, first 2 shown]
	s_waitcnt lgkmcnt(0)
	s_barrier
	buffer_gl0_inv
	s_and_saveexec_b32 s0, vcc_lo
	s_cbranch_execz .LBB0_27
; %bb.26:
	v_mul_lo_u32 v0, s3, v76
	v_mul_lo_u32 v4, s2, v77
	v_mad_u64_u32 v[2:3], null, s2, v76, 0
	v_lshl_add_u32 v28, v74, 4, v82
	v_mov_b32_e32 v75, v1
	v_lshlrev_b64 v[10:11], 4, v[72:73]
	v_lshlrev_b64 v[14:15], 4, v[74:75]
	v_add3_u32 v3, v3, v4, v0
	v_add_nc_u32_e32 v0, 0x78, v74
	v_lshlrev_b64 v[12:13], 4, v[2:3]
	ds_read_b128 v[2:5], v28
	ds_read_b128 v[6:9], v28 offset:1920
	v_add_co_u32 v16, vcc_lo, s10, v12
	v_add_co_ci_u32_e32 v17, vcc_lo, s11, v13, vcc_lo
	v_lshlrev_b64 v[12:13], 4, v[0:1]
	v_add_co_u32 v30, vcc_lo, v16, v10
	v_add_co_ci_u32_e32 v31, vcc_lo, v17, v11, vcc_lo
	v_add_nc_u32_e32 v0, 0xf0, v74
	v_add_co_u32 v10, vcc_lo, v30, v14
	v_add_co_ci_u32_e32 v11, vcc_lo, v31, v15, vcc_lo
	v_add_co_u32 v12, vcc_lo, v30, v12
	v_add_co_ci_u32_e32 v13, vcc_lo, v31, v13, vcc_lo
	v_lshlrev_b64 v[14:15], 4, v[0:1]
	v_add_nc_u32_e32 v0, 0x168, v74
	s_waitcnt lgkmcnt(1)
	global_store_dwordx4 v[10:11], v[2:5], off
	s_waitcnt lgkmcnt(0)
	global_store_dwordx4 v[12:13], v[6:9], off
	ds_read_b128 v[2:5], v28 offset:3840
	ds_read_b128 v[6:9], v28 offset:5760
	;; [unrolled: 1-line block ×3, first 2 shown]
	v_lshlrev_b64 v[16:17], 4, v[0:1]
	v_add_nc_u32_e32 v0, 0x1e0, v74
	v_add_co_u32 v14, vcc_lo, v30, v14
	v_add_co_ci_u32_e32 v15, vcc_lo, v31, v15, vcc_lo
	v_lshlrev_b64 v[18:19], 4, v[0:1]
	v_add_co_u32 v16, vcc_lo, v30, v16
	v_add_co_ci_u32_e32 v17, vcc_lo, v31, v17, vcc_lo
	v_add_nc_u32_e32 v0, 0x258, v74
	v_add_co_u32 v18, vcc_lo, v30, v18
	v_add_co_ci_u32_e32 v19, vcc_lo, v31, v19, vcc_lo
	v_lshlrev_b64 v[20:21], 4, v[0:1]
	v_add_nc_u32_e32 v0, 0x2d0, v74
	s_waitcnt lgkmcnt(2)
	global_store_dwordx4 v[14:15], v[2:5], off
	s_waitcnt lgkmcnt(1)
	global_store_dwordx4 v[16:17], v[6:9], off
	;; [unrolled: 2-line block ×3, first 2 shown]
	ds_read_b128 v[2:5], v28 offset:9600
	ds_read_b128 v[6:9], v28 offset:11520
	ds_read_b128 v[10:13], v28 offset:13440
	v_lshlrev_b64 v[14:15], 4, v[0:1]
	v_add_nc_u32_e32 v0, 0x348, v74
	v_add_co_u32 v16, vcc_lo, v30, v20
	v_add_co_ci_u32_e32 v17, vcc_lo, v31, v21, vcc_lo
	v_lshlrev_b64 v[18:19], 4, v[0:1]
	v_add_co_u32 v14, vcc_lo, v30, v14
	v_add_co_ci_u32_e32 v15, vcc_lo, v31, v15, vcc_lo
	v_add_nc_u32_e32 v0, 0x3c0, v74
	v_add_co_u32 v18, vcc_lo, v30, v18
	v_add_co_ci_u32_e32 v19, vcc_lo, v31, v19, vcc_lo
	s_waitcnt lgkmcnt(2)
	global_store_dwordx4 v[16:17], v[2:5], off
	s_waitcnt lgkmcnt(1)
	global_store_dwordx4 v[14:15], v[6:9], off
	;; [unrolled: 2-line block ×3, first 2 shown]
	v_lshlrev_b64 v[16:17], 4, v[0:1]
	v_add_nc_u32_e32 v0, 0x438, v74
	ds_read_b128 v[2:5], v28 offset:15360
	ds_read_b128 v[6:9], v28 offset:17280
	;; [unrolled: 1-line block ×3, first 2 shown]
	v_lshlrev_b64 v[14:15], 4, v[0:1]
	v_add_nc_u32_e32 v0, 0x4b0, v74
	v_add_co_u32 v16, vcc_lo, v30, v16
	v_add_co_ci_u32_e32 v17, vcc_lo, v31, v17, vcc_lo
	v_lshlrev_b64 v[18:19], 4, v[0:1]
	v_add_nc_u32_e32 v0, 0x528, v74
	v_add_co_u32 v14, vcc_lo, v30, v14
	v_add_co_ci_u32_e32 v15, vcc_lo, v31, v15, vcc_lo
	v_lshlrev_b64 v[20:21], 4, v[0:1]
	v_add_nc_u32_e32 v0, 0x5a0, v74
	v_add_co_u32 v18, vcc_lo, v30, v18
	s_waitcnt lgkmcnt(2)
	global_store_dwordx4 v[16:17], v[2:5], off
	s_waitcnt lgkmcnt(1)
	global_store_dwordx4 v[14:15], v[6:9], off
	v_add_co_ci_u32_e32 v19, vcc_lo, v31, v19, vcc_lo
	v_lshlrev_b64 v[6:7], 4, v[0:1]
	v_add_co_u32 v22, vcc_lo, v30, v20
	v_add_nc_u32_e32 v0, 0x618, v74
	v_add_co_ci_u32_e32 v23, vcc_lo, v31, v21, vcc_lo
	v_add_co_u32 v24, vcc_lo, v30, v6
	s_waitcnt lgkmcnt(0)
	global_store_dwordx4 v[18:19], v[10:13], off
	ds_read_b128 v[2:5], v28 offset:21120
	v_add_co_ci_u32_e32 v25, vcc_lo, v31, v7, vcc_lo
	ds_read_b128 v[6:9], v28 offset:23040
	ds_read_b128 v[10:13], v28 offset:24960
	;; [unrolled: 1-line block ×4, first 2 shown]
	v_lshlrev_b64 v[26:27], 4, v[0:1]
	v_add_nc_u32_e32 v0, 0x690, v74
	v_lshlrev_b64 v[28:29], 4, v[0:1]
	v_add_nc_u32_e32 v0, 0x708, v74
	v_add_co_u32 v26, vcc_lo, v30, v26
	v_add_co_ci_u32_e32 v27, vcc_lo, v31, v27, vcc_lo
	v_lshlrev_b64 v[0:1], 4, v[0:1]
	v_add_co_u32 v28, vcc_lo, v30, v28
	v_add_co_ci_u32_e32 v29, vcc_lo, v31, v29, vcc_lo
	v_add_co_u32 v0, vcc_lo, v30, v0
	v_add_co_ci_u32_e32 v1, vcc_lo, v31, v1, vcc_lo
	s_waitcnt lgkmcnt(4)
	global_store_dwordx4 v[22:23], v[2:5], off
	s_waitcnt lgkmcnt(3)
	global_store_dwordx4 v[24:25], v[6:9], off
	;; [unrolled: 2-line block ×5, first 2 shown]
.LBB0_27:
	s_endpgm
	.section	.rodata,"a",@progbits
	.p2align	6, 0x0
	.amdhsa_kernel fft_rtc_back_len1920_factors_10_6_16_2_wgs_240_tpt_120_halfLds_dp_op_CI_CI_unitstride_sbrr_C2R_dirReg
		.amdhsa_group_segment_fixed_size 0
		.amdhsa_private_segment_fixed_size 0
		.amdhsa_kernarg_size 104
		.amdhsa_user_sgpr_count 6
		.amdhsa_user_sgpr_private_segment_buffer 1
		.amdhsa_user_sgpr_dispatch_ptr 0
		.amdhsa_user_sgpr_queue_ptr 0
		.amdhsa_user_sgpr_kernarg_segment_ptr 1
		.amdhsa_user_sgpr_dispatch_id 0
		.amdhsa_user_sgpr_flat_scratch_init 0
		.amdhsa_user_sgpr_private_segment_size 0
		.amdhsa_wavefront_size32 1
		.amdhsa_uses_dynamic_stack 0
		.amdhsa_system_sgpr_private_segment_wavefront_offset 0
		.amdhsa_system_sgpr_workgroup_id_x 1
		.amdhsa_system_sgpr_workgroup_id_y 0
		.amdhsa_system_sgpr_workgroup_id_z 0
		.amdhsa_system_sgpr_workgroup_info 0
		.amdhsa_system_vgpr_workitem_id 0
		.amdhsa_next_free_vgpr 196
		.amdhsa_next_free_sgpr 27
		.amdhsa_reserve_vcc 1
		.amdhsa_reserve_flat_scratch 0
		.amdhsa_float_round_mode_32 0
		.amdhsa_float_round_mode_16_64 0
		.amdhsa_float_denorm_mode_32 3
		.amdhsa_float_denorm_mode_16_64 3
		.amdhsa_dx10_clamp 1
		.amdhsa_ieee_mode 1
		.amdhsa_fp16_overflow 0
		.amdhsa_workgroup_processor_mode 1
		.amdhsa_memory_ordered 1
		.amdhsa_forward_progress 0
		.amdhsa_shared_vgpr_count 0
		.amdhsa_exception_fp_ieee_invalid_op 0
		.amdhsa_exception_fp_denorm_src 0
		.amdhsa_exception_fp_ieee_div_zero 0
		.amdhsa_exception_fp_ieee_overflow 0
		.amdhsa_exception_fp_ieee_underflow 0
		.amdhsa_exception_fp_ieee_inexact 0
		.amdhsa_exception_int_div_zero 0
	.end_amdhsa_kernel
	.text
.Lfunc_end0:
	.size	fft_rtc_back_len1920_factors_10_6_16_2_wgs_240_tpt_120_halfLds_dp_op_CI_CI_unitstride_sbrr_C2R_dirReg, .Lfunc_end0-fft_rtc_back_len1920_factors_10_6_16_2_wgs_240_tpt_120_halfLds_dp_op_CI_CI_unitstride_sbrr_C2R_dirReg
                                        ; -- End function
	.section	.AMDGPU.csdata,"",@progbits
; Kernel info:
; codeLenInByte = 13120
; NumSgprs: 29
; NumVgprs: 196
; ScratchSize: 0
; MemoryBound: 0
; FloatMode: 240
; IeeeMode: 1
; LDSByteSize: 0 bytes/workgroup (compile time only)
; SGPRBlocks: 3
; VGPRBlocks: 24
; NumSGPRsForWavesPerEU: 29
; NumVGPRsForWavesPerEU: 196
; Occupancy: 4
; WaveLimiterHint : 1
; COMPUTE_PGM_RSRC2:SCRATCH_EN: 0
; COMPUTE_PGM_RSRC2:USER_SGPR: 6
; COMPUTE_PGM_RSRC2:TRAP_HANDLER: 0
; COMPUTE_PGM_RSRC2:TGID_X_EN: 1
; COMPUTE_PGM_RSRC2:TGID_Y_EN: 0
; COMPUTE_PGM_RSRC2:TGID_Z_EN: 0
; COMPUTE_PGM_RSRC2:TIDIG_COMP_CNT: 0
	.text
	.p2alignl 6, 3214868480
	.fill 48, 4, 3214868480
	.type	__hip_cuid_7b04ea2713ac56d7,@object ; @__hip_cuid_7b04ea2713ac56d7
	.section	.bss,"aw",@nobits
	.globl	__hip_cuid_7b04ea2713ac56d7
__hip_cuid_7b04ea2713ac56d7:
	.byte	0                               ; 0x0
	.size	__hip_cuid_7b04ea2713ac56d7, 1

	.ident	"AMD clang version 19.0.0git (https://github.com/RadeonOpenCompute/llvm-project roc-6.4.0 25133 c7fe45cf4b819c5991fe208aaa96edf142730f1d)"
	.section	".note.GNU-stack","",@progbits
	.addrsig
	.addrsig_sym __hip_cuid_7b04ea2713ac56d7
	.amdgpu_metadata
---
amdhsa.kernels:
  - .args:
      - .actual_access:  read_only
        .address_space:  global
        .offset:         0
        .size:           8
        .value_kind:     global_buffer
      - .offset:         8
        .size:           8
        .value_kind:     by_value
      - .actual_access:  read_only
        .address_space:  global
        .offset:         16
        .size:           8
        .value_kind:     global_buffer
      - .actual_access:  read_only
        .address_space:  global
        .offset:         24
        .size:           8
        .value_kind:     global_buffer
      - .actual_access:  read_only
        .address_space:  global
        .offset:         32
        .size:           8
        .value_kind:     global_buffer
      - .offset:         40
        .size:           8
        .value_kind:     by_value
      - .actual_access:  read_only
        .address_space:  global
        .offset:         48
        .size:           8
        .value_kind:     global_buffer
      - .actual_access:  read_only
        .address_space:  global
        .offset:         56
        .size:           8
        .value_kind:     global_buffer
      - .offset:         64
        .size:           4
        .value_kind:     by_value
      - .actual_access:  read_only
        .address_space:  global
        .offset:         72
        .size:           8
        .value_kind:     global_buffer
      - .actual_access:  read_only
        .address_space:  global
        .offset:         80
        .size:           8
        .value_kind:     global_buffer
      - .actual_access:  read_only
        .address_space:  global
        .offset:         88
        .size:           8
        .value_kind:     global_buffer
      - .actual_access:  write_only
        .address_space:  global
        .offset:         96
        .size:           8
        .value_kind:     global_buffer
    .group_segment_fixed_size: 0
    .kernarg_segment_align: 8
    .kernarg_segment_size: 104
    .language:       OpenCL C
    .language_version:
      - 2
      - 0
    .max_flat_workgroup_size: 240
    .name:           fft_rtc_back_len1920_factors_10_6_16_2_wgs_240_tpt_120_halfLds_dp_op_CI_CI_unitstride_sbrr_C2R_dirReg
    .private_segment_fixed_size: 0
    .sgpr_count:     29
    .sgpr_spill_count: 0
    .symbol:         fft_rtc_back_len1920_factors_10_6_16_2_wgs_240_tpt_120_halfLds_dp_op_CI_CI_unitstride_sbrr_C2R_dirReg.kd
    .uniform_work_group_size: 1
    .uses_dynamic_stack: false
    .vgpr_count:     196
    .vgpr_spill_count: 0
    .wavefront_size: 32
    .workgroup_processor_mode: 1
amdhsa.target:   amdgcn-amd-amdhsa--gfx1030
amdhsa.version:
  - 1
  - 2
...

	.end_amdgpu_metadata
